;; amdgpu-corpus repo=ROCm/rocFFT kind=compiled arch=gfx950 opt=O3
	.text
	.amdgcn_target "amdgcn-amd-amdhsa--gfx950"
	.amdhsa_code_object_version 6
	.protected	fft_rtc_back_len495_factors_11_9_5_wgs_55_tpt_55_sp_ip_CI_sbrr_dirReg ; -- Begin function fft_rtc_back_len495_factors_11_9_5_wgs_55_tpt_55_sp_ip_CI_sbrr_dirReg
	.globl	fft_rtc_back_len495_factors_11_9_5_wgs_55_tpt_55_sp_ip_CI_sbrr_dirReg
	.p2align	8
	.type	fft_rtc_back_len495_factors_11_9_5_wgs_55_tpt_55_sp_ip_CI_sbrr_dirReg,@function
fft_rtc_back_len495_factors_11_9_5_wgs_55_tpt_55_sp_ip_CI_sbrr_dirReg: ; @fft_rtc_back_len495_factors_11_9_5_wgs_55_tpt_55_sp_ip_CI_sbrr_dirReg
; %bb.0:
	s_load_dwordx2 s[12:13], s[0:1], 0x18
	s_load_dwordx4 s[4:7], s[0:1], 0x0
	s_load_dwordx2 s[10:11], s[0:1], 0x50
	v_mul_u32_u24_e32 v1, 0x4a8, v0
	v_add_u32_sdwa v6, s2, v1 dst_sel:DWORD dst_unused:UNUSED_PAD src0_sel:DWORD src1_sel:WORD_1
	s_waitcnt lgkmcnt(0)
	s_load_dwordx2 s[8:9], s[12:13], 0x0
	v_mov_b32_e32 v4, 0
	v_cmp_lt_u64_e64 s[2:3], s[6:7], 2
	v_mov_b32_e32 v7, v4
	s_and_b64 vcc, exec, s[2:3]
	v_mov_b64_e32 v[2:3], 0
	s_cbranch_vccnz .LBB0_8
; %bb.1:
	s_load_dwordx2 s[2:3], s[0:1], 0x10
	s_add_u32 s14, s12, 8
	s_addc_u32 s15, s13, 0
	s_mov_b64 s[16:17], 1
	v_mov_b64_e32 v[2:3], 0
	s_waitcnt lgkmcnt(0)
	s_add_u32 s18, s2, 8
	s_addc_u32 s19, s3, 0
.LBB0_2:                                ; =>This Inner Loop Header: Depth=1
	s_load_dwordx2 s[20:21], s[18:19], 0x0
                                        ; implicit-def: $vgpr8_vgpr9
	s_waitcnt lgkmcnt(0)
	v_or_b32_e32 v5, s21, v7
	v_cmp_ne_u64_e32 vcc, 0, v[4:5]
	s_and_saveexec_b64 s[2:3], vcc
	s_xor_b64 s[22:23], exec, s[2:3]
	s_cbranch_execz .LBB0_4
; %bb.3:                                ;   in Loop: Header=BB0_2 Depth=1
	v_cvt_f32_u32_e32 v1, s20
	v_cvt_f32_u32_e32 v5, s21
	s_sub_u32 s2, 0, s20
	s_subb_u32 s3, 0, s21
	v_fmac_f32_e32 v1, 0x4f800000, v5
	v_rcp_f32_e32 v1, v1
	s_nop 0
	v_mul_f32_e32 v1, 0x5f7ffffc, v1
	v_mul_f32_e32 v5, 0x2f800000, v1
	v_trunc_f32_e32 v5, v5
	v_fmac_f32_e32 v1, 0xcf800000, v5
	v_cvt_u32_f32_e32 v5, v5
	v_cvt_u32_f32_e32 v1, v1
	v_mul_lo_u32 v8, s2, v5
	v_mul_hi_u32 v10, s2, v1
	v_mul_lo_u32 v9, s3, v1
	v_add_u32_e32 v10, v10, v8
	v_mul_lo_u32 v12, s2, v1
	v_add_u32_e32 v13, v10, v9
	v_mul_hi_u32 v8, v1, v12
	v_mul_hi_u32 v11, v1, v13
	v_mul_lo_u32 v10, v1, v13
	v_mov_b32_e32 v9, v4
	v_lshl_add_u64 v[8:9], v[8:9], 0, v[10:11]
	v_mul_hi_u32 v11, v5, v12
	v_mul_lo_u32 v12, v5, v12
	v_add_co_u32_e32 v8, vcc, v8, v12
	v_mul_hi_u32 v10, v5, v13
	s_nop 0
	v_addc_co_u32_e32 v8, vcc, v9, v11, vcc
	v_mov_b32_e32 v9, v4
	s_nop 0
	v_addc_co_u32_e32 v11, vcc, 0, v10, vcc
	v_mul_lo_u32 v10, v5, v13
	v_lshl_add_u64 v[8:9], v[8:9], 0, v[10:11]
	v_add_co_u32_e32 v1, vcc, v1, v8
	v_mul_lo_u32 v10, s2, v1
	s_nop 0
	v_addc_co_u32_e32 v5, vcc, v5, v9, vcc
	v_mul_lo_u32 v8, s2, v5
	v_mul_hi_u32 v9, s2, v1
	v_add_u32_e32 v8, v9, v8
	v_mul_lo_u32 v9, s3, v1
	v_add_u32_e32 v12, v8, v9
	v_mul_hi_u32 v14, v5, v10
	v_mul_lo_u32 v15, v5, v10
	v_mul_hi_u32 v9, v1, v12
	v_mul_lo_u32 v8, v1, v12
	v_mul_hi_u32 v10, v1, v10
	v_mov_b32_e32 v11, v4
	v_lshl_add_u64 v[8:9], v[10:11], 0, v[8:9]
	v_add_co_u32_e32 v8, vcc, v8, v15
	v_mul_hi_u32 v13, v5, v12
	s_nop 0
	v_addc_co_u32_e32 v8, vcc, v9, v14, vcc
	v_mul_lo_u32 v10, v5, v12
	s_nop 0
	v_addc_co_u32_e32 v11, vcc, 0, v13, vcc
	v_mov_b32_e32 v9, v4
	v_lshl_add_u64 v[8:9], v[8:9], 0, v[10:11]
	v_add_co_u32_e32 v1, vcc, v1, v8
	v_mul_hi_u32 v10, v6, v1
	s_nop 0
	v_addc_co_u32_e32 v5, vcc, v5, v9, vcc
	v_mad_u64_u32 v[8:9], s[2:3], v6, v5, 0
	v_mov_b32_e32 v11, v4
	v_lshl_add_u64 v[8:9], v[10:11], 0, v[8:9]
	v_mad_u64_u32 v[12:13], s[2:3], v7, v1, 0
	v_add_co_u32_e32 v1, vcc, v8, v12
	v_mad_u64_u32 v[10:11], s[2:3], v7, v5, 0
	s_nop 0
	v_addc_co_u32_e32 v8, vcc, v9, v13, vcc
	v_mov_b32_e32 v9, v4
	s_nop 0
	v_addc_co_u32_e32 v11, vcc, 0, v11, vcc
	v_lshl_add_u64 v[8:9], v[8:9], 0, v[10:11]
	v_mul_lo_u32 v1, s21, v8
	v_mul_lo_u32 v5, s20, v9
	v_mad_u64_u32 v[10:11], s[2:3], s20, v8, 0
	v_add3_u32 v1, v11, v5, v1
	v_sub_u32_e32 v5, v7, v1
	v_mov_b32_e32 v11, s21
	v_sub_co_u32_e32 v14, vcc, v6, v10
	v_lshl_add_u64 v[12:13], v[8:9], 0, 1
	s_nop 0
	v_subb_co_u32_e64 v5, s[2:3], v5, v11, vcc
	v_subrev_co_u32_e64 v10, s[2:3], s20, v14
	v_subb_co_u32_e32 v1, vcc, v7, v1, vcc
	s_nop 0
	v_subbrev_co_u32_e64 v5, s[2:3], 0, v5, s[2:3]
	v_cmp_le_u32_e64 s[2:3], s21, v5
	v_cmp_le_u32_e32 vcc, s21, v1
	s_nop 0
	v_cndmask_b32_e64 v11, 0, -1, s[2:3]
	v_cmp_le_u32_e64 s[2:3], s20, v10
	s_nop 1
	v_cndmask_b32_e64 v10, 0, -1, s[2:3]
	v_cmp_eq_u32_e64 s[2:3], s21, v5
	s_nop 1
	v_cndmask_b32_e64 v5, v11, v10, s[2:3]
	v_lshl_add_u64 v[10:11], v[8:9], 0, 2
	v_cmp_ne_u32_e64 s[2:3], 0, v5
	s_nop 1
	v_cndmask_b32_e64 v5, v13, v11, s[2:3]
	v_cndmask_b32_e64 v11, 0, -1, vcc
	v_cmp_le_u32_e32 vcc, s20, v14
	s_nop 1
	v_cndmask_b32_e64 v13, 0, -1, vcc
	v_cmp_eq_u32_e32 vcc, s21, v1
	s_nop 1
	v_cndmask_b32_e32 v1, v11, v13, vcc
	v_cmp_ne_u32_e32 vcc, 0, v1
	v_cndmask_b32_e64 v1, v12, v10, s[2:3]
	s_nop 0
	v_cndmask_b32_e32 v9, v9, v5, vcc
	v_cndmask_b32_e32 v8, v8, v1, vcc
.LBB0_4:                                ;   in Loop: Header=BB0_2 Depth=1
	s_andn2_saveexec_b64 s[2:3], s[22:23]
	s_cbranch_execz .LBB0_6
; %bb.5:                                ;   in Loop: Header=BB0_2 Depth=1
	v_cvt_f32_u32_e32 v1, s20
	s_sub_i32 s22, 0, s20
	v_rcp_iflag_f32_e32 v1, v1
	s_nop 0
	v_mul_f32_e32 v1, 0x4f7ffffe, v1
	v_cvt_u32_f32_e32 v1, v1
	v_mul_lo_u32 v5, s22, v1
	v_mul_hi_u32 v5, v1, v5
	v_add_u32_e32 v1, v1, v5
	v_mul_hi_u32 v1, v6, v1
	v_mul_lo_u32 v5, v1, s20
	v_sub_u32_e32 v5, v6, v5
	v_add_u32_e32 v8, 1, v1
	v_subrev_u32_e32 v9, s20, v5
	v_cmp_le_u32_e32 vcc, s20, v5
	s_nop 1
	v_cndmask_b32_e32 v5, v5, v9, vcc
	v_cndmask_b32_e32 v1, v1, v8, vcc
	v_add_u32_e32 v8, 1, v1
	v_cmp_le_u32_e32 vcc, s20, v5
	v_mov_b32_e32 v9, v4
	s_nop 0
	v_cndmask_b32_e32 v8, v1, v8, vcc
.LBB0_6:                                ;   in Loop: Header=BB0_2 Depth=1
	s_or_b64 exec, exec, s[2:3]
	v_mad_u64_u32 v[10:11], s[2:3], v8, s20, 0
	s_load_dwordx2 s[2:3], s[14:15], 0x0
	v_mul_lo_u32 v1, v9, s20
	v_mul_lo_u32 v5, v8, s21
	v_add3_u32 v1, v11, v5, v1
	v_sub_co_u32_e32 v5, vcc, v6, v10
	s_add_u32 s16, s16, 1
	s_nop 0
	v_subb_co_u32_e32 v1, vcc, v7, v1, vcc
	s_addc_u32 s17, s17, 0
	s_waitcnt lgkmcnt(0)
	v_mul_lo_u32 v1, s2, v1
	v_mul_lo_u32 v6, s3, v5
	v_mad_u64_u32 v[2:3], s[2:3], s2, v5, v[2:3]
	s_add_u32 s14, s14, 8
	v_add3_u32 v3, v6, v3, v1
	s_addc_u32 s15, s15, 0
	v_mov_b64_e32 v[6:7], s[6:7]
	s_add_u32 s18, s18, 8
	v_cmp_ge_u64_e32 vcc, s[16:17], v[6:7]
	s_addc_u32 s19, s19, 0
	s_cbranch_vccnz .LBB0_9
; %bb.7:                                ;   in Loop: Header=BB0_2 Depth=1
	v_mov_b64_e32 v[6:7], v[8:9]
	s_branch .LBB0_2
.LBB0_8:
	v_mov_b64_e32 v[8:9], v[6:7]
.LBB0_9:
	s_lshl_b64 s[2:3], s[6:7], 3
	s_add_u32 s2, s12, s2
	s_addc_u32 s3, s13, s3
	s_load_dwordx2 s[6:7], s[2:3], 0x0
	s_load_dwordx2 s[12:13], s[0:1], 0x20
	s_waitcnt lgkmcnt(0)
	v_mad_u64_u32 v[2:3], s[0:1], s6, v8, v[2:3]
	v_mul_lo_u32 v1, s6, v9
	v_mul_lo_u32 v4, s7, v8
	s_mov_b32 s0, 0x4a7904b
	v_add3_u32 v3, v4, v3, v1
	v_mul_hi_u32 v1, v0, s0
	v_mul_u32_u24_e32 v1, 55, v1
	v_sub_u32_e32 v77, v0, v1
	v_cmp_gt_u64_e32 vcc, s[12:13], v[8:9]
	v_lshl_add_u64 v[20:21], v[2:3], 3, s[10:11]
	v_lshl_add_u32 v76, v77, 3, 0
	v_add_u32_e32 v78, 55, v77
	s_and_saveexec_b64 s[0:1], vcc
	s_cbranch_execz .LBB0_11
; %bb.10:
	v_mad_u64_u32 v[0:1], s[2:3], s8, v77, 0
	v_mov_b32_e32 v2, v1
	v_mad_u64_u32 v[2:3], s[2:3], s9, v77, v[2:3]
	v_mov_b32_e32 v1, v2
	;; [unrolled: 2-line block ×3, first 2 shown]
	v_mad_u64_u32 v[4:5], s[2:3], s9, v78, v[4:5]
	v_add_u32_e32 v7, 0x6e, v77
	v_mov_b32_e32 v3, v4
	v_mad_u64_u32 v[4:5], s[2:3], s8, v7, 0
	v_mov_b32_e32 v6, v5
	v_mad_u64_u32 v[6:7], s[2:3], s9, v7, v[6:7]
	v_add_u32_e32 v9, 0xa5, v77
	v_mov_b32_e32 v5, v6
	v_mad_u64_u32 v[6:7], s[2:3], s8, v9, 0
	v_mov_b32_e32 v8, v7
	v_mad_u64_u32 v[8:9], s[2:3], s9, v9, v[8:9]
	v_lshl_add_u64 v[0:1], v[0:1], 3, v[20:21]
	v_lshl_add_u64 v[2:3], v[2:3], 3, v[20:21]
	v_mov_b32_e32 v7, v8
	v_lshl_add_u64 v[4:5], v[4:5], 3, v[20:21]
	v_lshl_add_u64 v[6:7], v[6:7], 3, v[20:21]
	global_load_dwordx2 v[8:9], v[0:1], off
	global_load_dwordx2 v[10:11], v[2:3], off
	;; [unrolled: 1-line block ×4, first 2 shown]
	v_add_u32_e32 v3, 0xdc, v77
	v_mad_u64_u32 v[0:1], s[2:3], s8, v3, 0
	v_mov_b32_e32 v2, v1
	v_mad_u64_u32 v[2:3], s[2:3], s9, v3, v[2:3]
	v_add_u32_e32 v5, 0x113, v77
	v_mov_b32_e32 v1, v2
	v_mad_u64_u32 v[2:3], s[2:3], s8, v5, 0
	v_mov_b32_e32 v4, v3
	v_mad_u64_u32 v[4:5], s[2:3], s9, v5, v[4:5]
	v_add_u32_e32 v7, 0x14a, v77
	v_mov_b32_e32 v3, v4
	;; [unrolled: 5-line block ×3, first 2 shown]
	v_mad_u64_u32 v[6:7], s[2:3], s8, v17, 0
	v_mov_b32_e32 v16, v7
	v_mad_u64_u32 v[16:17], s[2:3], s9, v17, v[16:17]
	v_lshl_add_u64 v[0:1], v[0:1], 3, v[20:21]
	v_lshl_add_u64 v[2:3], v[2:3], 3, v[20:21]
	v_mov_b32_e32 v7, v16
	v_lshl_add_u64 v[4:5], v[4:5], 3, v[20:21]
	v_lshl_add_u64 v[6:7], v[6:7], 3, v[20:21]
	global_load_dwordx2 v[16:17], v[0:1], off
	global_load_dwordx2 v[18:19], v[2:3], off
	;; [unrolled: 1-line block ×4, first 2 shown]
	v_add_u32_e32 v3, 0x1b8, v77
	v_mad_u64_u32 v[0:1], s[2:3], s8, v3, 0
	v_mov_b32_e32 v2, v1
	v_mad_u64_u32 v[2:3], s[2:3], s9, v3, v[2:3]
	v_mov_b32_e32 v1, v2
	v_lshl_add_u64 v[0:1], v[0:1], 3, v[20:21]
	global_load_dwordx2 v[0:1], v[0:1], off
	v_add_u32_e32 v2, 0x400, v76
	v_add_u32_e32 v3, 0x800, v76
	s_waitcnt vmcnt(7)
	ds_write2_b64 v76, v[8:9], v[10:11] offset1:55
	s_waitcnt vmcnt(5)
	ds_write2_b64 v76, v[12:13], v[14:15] offset0:110 offset1:165
	s_waitcnt vmcnt(3)
	ds_write2_b64 v2, v[16:17], v[18:19] offset0:92 offset1:147
	;; [unrolled: 2-line block ×3, first 2 shown]
	s_waitcnt vmcnt(0)
	ds_write_b64 v76, v[0:1] offset:3520
.LBB0_11:
	s_or_b64 exec, exec, s[0:1]
	s_waitcnt lgkmcnt(0)
	; wave barrier
	s_waitcnt lgkmcnt(0)
	ds_read2_b64 v[0:3], v76 offset1:45
	ds_read2_b64 v[12:15], v76 offset0:90 offset1:135
	ds_read_b64 v[56:57], v76 offset:3600
	v_add_u32_e32 v79, 0x800, v76
	ds_read2_b64 v[4:7], v79 offset0:104 offset1:149
	ds_read2_b64 v[16:19], v76 offset0:180 offset1:225
	;; [unrolled: 1-line block ×3, first 2 shown]
	s_mov_b32 s6, 0x3ed4b147
	s_mov_b32 s7, 0xbf68dda4
	s_waitcnt lgkmcnt(3)
	v_pk_add_f32 v[32:33], v[56:57], v[2:3]
	v_pk_add_f32 v[34:35], v[2:3], v[56:57] neg_lo:[0,1] neg_hi:[0,1]
	s_mov_b32 s10, 0xbf27a4f4
	s_waitcnt lgkmcnt(2)
	v_pk_add_f32 v[28:29], v[6:7], v[12:13]
	v_pk_add_f32 v[30:31], v[12:13], v[6:7] neg_lo:[0,1] neg_hi:[0,1]
	v_mov_b32_e32 v22, v35
	v_mov_b32_e32 v23, v33
	s_mov_b32 s0, s7
	s_mov_b32 s1, s6
	;; [unrolled: 1-line block ×3, first 2 shown]
	v_pk_mul_f32 v[46:47], v[22:23], s[0:1]
	v_mov_b32_e32 v48, v32
	v_mov_b32_e32 v49, v34
	;; [unrolled: 1-line block ×4, first 2 shown]
	s_mov_b32 s0, s11
	s_mov_b32 s1, s10
	v_pk_fma_f32 v[44:45], v[48:49], s[6:7], v[46:47]
	v_pk_fma_f32 v[22:23], v[48:49], s[6:7], v[46:47] neg_lo:[0,0,1] neg_hi:[0,0,1]
	v_pk_mul_f32 v[50:51], v[36:37], s[0:1]
	v_mov_b32_e32 v54, v28
	v_mov_b32_e32 v55, v30
	;; [unrolled: 1-line block ×3, first 2 shown]
	v_pk_fma_f32 v[52:53], v[54:55], s[10:11], v[50:51]
	v_pk_fma_f32 v[36:37], v[54:55], s[10:11], v[50:51] neg_lo:[0,0,1] neg_hi:[0,0,1]
	s_mov_b32 s14, 0xbf75a155
	v_pk_add_f32 v[24:25], v[4:5], v[14:15]
	v_pk_add_f32 v[26:27], v[14:15], v[4:5] neg_lo:[0,1] neg_hi:[0,1]
	v_pk_add_f32 v[22:23], v[0:1], v[22:23]
	v_mov_b32_e32 v37, v53
	s_mov_b32 s15, 0x3e903f40
	v_pk_add_f32 v[22:23], v[36:37], v[22:23]
	v_mov_b32_e32 v36, v27
	v_mov_b32_e32 v37, v25
	s_mov_b32 s0, s15
	s_mov_b32 s1, s14
	v_pk_mul_f32 v[58:59], v[36:37], s[0:1]
	v_mov_b32_e32 v62, v24
	v_mov_b32_e32 v63, v26
	v_pk_fma_f32 v[60:61], v[62:63], s[14:15], v[58:59]
	v_pk_fma_f32 v[36:37], v[62:63], s[14:15], v[58:59] neg_lo:[0,0,1] neg_hi:[0,0,1]
	s_mov_b32 s12, 0xbe11bafb
	v_mov_b32_e32 v37, v61
	v_pk_add_f32 v[22:23], v[36:37], v[22:23]
	s_waitcnt lgkmcnt(0)
	v_pk_add_f32 v[36:37], v[10:11], v[16:17]
	v_pk_add_f32 v[38:39], v[16:17], v[10:11] neg_lo:[0,1] neg_hi:[0,1]
	s_mov_b32 s13, 0x3f7d64f0
	v_mov_b32_e32 v40, v39
	v_mov_b32_e32 v41, v37
	s_mov_b32 s0, s13
	s_mov_b32 s1, s12
	v_pk_mul_f32 v[64:65], v[40:41], s[0:1]
	v_mov_b32_e32 v68, v36
	v_mov_b32_e32 v69, v38
	v_pk_fma_f32 v[66:67], v[68:69], s[12:13], v[64:65]
	v_pk_fma_f32 v[40:41], v[68:69], s[12:13], v[64:65] neg_lo:[0,0,1] neg_hi:[0,0,1]
	s_mov_b32 s16, 0x3f575c64
	v_mov_b32_e32 v41, v67
	v_pk_add_f32 v[22:23], v[40:41], v[22:23]
	v_pk_add_f32 v[40:41], v[8:9], v[18:19]
	v_pk_add_f32 v[42:43], v[18:19], v[8:9] neg_lo:[0,1] neg_hi:[0,1]
	s_mov_b32 s17, 0x3f0a6770
	v_mov_b32_e32 v70, v43
	v_mov_b32_e32 v71, v41
	s_mov_b32 s0, s17
	s_mov_b32 s1, s16
	v_pk_mul_f32 v[70:71], v[70:71], s[0:1]
	v_mov_b32_e32 v74, v40
	v_mov_b32_e32 v75, v42
	v_pk_fma_f32 v[72:73], v[74:75], s[16:17], v[70:71]
	v_pk_fma_f32 v[80:81], v[74:75], s[16:17], v[70:71] neg_lo:[0,0,1] neg_hi:[0,0,1]
	v_cmp_gt_u32_e64 s[0:1], 45, v77
	v_mov_b32_e32 v81, v73
	v_pk_add_f32 v[22:23], v[80:81], v[22:23]
	s_waitcnt lgkmcnt(0)
	; wave barrier
	s_and_saveexec_b64 s[2:3], s[0:1]
	s_cbranch_execz .LBB0_13
; %bb.12:
	v_pk_add_f32 v[2:3], v[0:1], v[2:3]
	s_mov_b32 s20, 0xbf0a6770
	v_pk_add_f32 v[2:3], v[2:3], v[12:13]
	v_pk_mul_f32 v[12:13], v[34:35], s[20:21] op_sel_hi:[1,0]
	v_pk_add_f32 v[2:3], v[2:3], v[14:15]
	s_mov_b32 s0, s7
	v_pk_add_f32 v[2:3], v[2:3], v[16:17]
	v_pk_mul_f32 v[14:15], v[30:31], s[0:1] op_sel_hi:[1,0]
	;; [unrolled: 4-line block ×3, first 2 shown]
	v_pk_add_f32 v[2:3], v[2:3], v[10:11]
	v_pk_fma_f32 v[10:11], v[28:29], s[6:7], v[14:15] op_sel:[0,0,1] op_sel_hi:[1,0,0]
	v_pk_add_f32 v[2:3], v[2:3], v[4:5]
	v_pk_fma_f32 v[4:5], v[32:33], s[16:17], v[12:13] op_sel:[0,0,1] op_sel_hi:[1,0,0]
	v_pk_add_f32 v[2:3], v[2:3], v[6:7]
	v_pk_fma_f32 v[6:7], v[32:33], s[16:17], v[12:13] op_sel:[0,0,1] op_sel_hi:[1,0,0] neg_lo:[0,0,1] neg_hi:[0,0,1]
	v_mov_b32_e32 v8, v4
	v_mov_b32_e32 v9, v7
	v_pk_fma_f32 v[12:13], v[28:29], s[6:7], v[14:15] op_sel:[0,0,1] op_sel_hi:[1,0,0] neg_lo:[0,0,1] neg_hi:[0,0,1]
	v_pk_add_f32 v[8:9], v[0:1], v[8:9]
	v_mov_b32_e32 v14, v10
	v_mov_b32_e32 v15, v13
	v_pk_add_f32 v[8:9], v[14:15], v[8:9]
	v_pk_fma_f32 v[14:15], v[24:25], s[12:13], v[16:17] op_sel:[0,0,1] op_sel_hi:[1,0,0]
	v_pk_fma_f32 v[16:17], v[24:25], s[12:13], v[16:17] op_sel:[0,0,1] op_sel_hi:[1,0,0] neg_lo:[0,0,1] neg_hi:[0,0,1]
	s_mov_b32 s18, s11
	v_mov_b32_e32 v18, v14
	v_mov_b32_e32 v19, v17
	v_pk_add_f32 v[8:9], v[18:19], v[8:9]
	v_pk_mul_f32 v[18:19], v[38:39], s[18:19] op_sel_hi:[1,0]
	v_pk_add_f32 v[2:3], v[2:3], v[56:57]
	v_pk_fma_f32 v[56:57], v[36:37], s[10:11], v[18:19] op_sel:[0,0,1] op_sel_hi:[1,0,0]
	v_pk_fma_f32 v[18:19], v[36:37], s[10:11], v[18:19] op_sel:[0,0,1] op_sel_hi:[1,0,0] neg_lo:[0,0,1] neg_hi:[0,0,1]
	v_mov_b32_e32 v80, v56
	v_mov_b32_e32 v81, v19
	s_mov_b32 s22, 0xbe903f40
	v_pk_add_f32 v[8:9], v[80:81], v[8:9]
	v_pk_mul_f32 v[80:81], v[42:43], s[22:23] op_sel_hi:[1,0]
	s_movk_i32 s1, 0x50
	v_pk_fma_f32 v[82:83], v[40:41], s[14:15], v[80:81] op_sel:[0,0,1] op_sel_hi:[1,0,0]
	v_pk_fma_f32 v[80:81], v[40:41], s[14:15], v[80:81] op_sel:[0,0,1] op_sel_hi:[1,0,0] neg_lo:[0,0,1] neg_hi:[0,0,1]
	v_mov_b32_e32 v84, v82
	v_mov_b32_e32 v85, v81
	v_pk_add_f32 v[8:9], v[84:85], v[8:9]
	v_mad_u32_u24 v4, v77, s1, v76
	ds_write2_b64 v4, v[2:3], v[8:9] offset1:1
	v_pk_mul_f32 v[2:3], v[48:49], s[6:7]
	v_pk_mul_f32 v[8:9], v[62:63], s[14:15]
	v_pk_add_f32 v[2:3], v[46:47], v[2:3] neg_lo:[0,1] neg_hi:[0,1]
	v_pk_mul_f32 v[46:47], v[68:69], s[12:13]
	v_pk_add_f32 v[8:9], v[58:59], v[8:9] neg_lo:[0,1] neg_hi:[0,1]
	v_mov_b32_e32 v45, v3
	v_pk_mul_f32 v[2:3], v[54:55], s[10:11]
	v_pk_mul_f32 v[48:49], v[74:75], s[16:17]
	v_mov_b32_e32 v61, v9
	v_pk_add_f32 v[8:9], v[64:65], v[46:47] neg_lo:[0,1] neg_hi:[0,1]
	v_pk_add_f32 v[2:3], v[50:51], v[2:3] neg_lo:[0,1] neg_hi:[0,1]
	v_mov_b32_e32 v67, v9
	v_pk_add_f32 v[8:9], v[70:71], v[48:49] neg_lo:[0,1] neg_hi:[0,1]
	v_pk_add_f32 v[44:45], v[0:1], v[44:45]
	v_mov_b32_e32 v53, v3
	v_mov_b32_e32 v73, v9
	v_pk_mul_f32 v[8:9], v[34:35], s[0:1] op_sel_hi:[1,0]
	s_mov_b32 s24, s15
	v_pk_add_f32 v[2:3], v[52:53], v[44:45]
	v_pk_fma_f32 v[44:45], v[32:33], s[12:13], v[8:9] op_sel:[0,0,1] op_sel_hi:[1,0,0]
	v_pk_fma_f32 v[8:9], v[32:33], s[12:13], v[8:9] op_sel:[0,0,1] op_sel_hi:[1,0,0] neg_lo:[0,0,1] neg_hi:[0,0,1]
	v_pk_mul_f32 v[48:49], v[30:31], s[24:25] op_sel_hi:[1,0]
	v_mov_b32_e32 v46, v44
	v_mov_b32_e32 v47, v9
	v_pk_fma_f32 v[50:51], v[28:29], s[14:15], v[48:49] op_sel:[0,0,1] op_sel_hi:[1,0,0]
	v_pk_fma_f32 v[48:49], v[28:29], s[14:15], v[48:49] op_sel:[0,0,1] op_sel_hi:[1,0,0] neg_lo:[0,0,1] neg_hi:[0,0,1]
	v_pk_add_f32 v[46:47], v[0:1], v[46:47]
	v_mov_b32_e32 v52, v50
	v_mov_b32_e32 v53, v49
	s_mov_b32 s24, 0x3f68dda4
	v_pk_add_f32 v[46:47], v[52:53], v[46:47]
	v_pk_mul_f32 v[52:53], v[26:27], s[24:25] op_sel_hi:[1,0]
	v_pk_add_f32 v[2:3], v[60:61], v[2:3]
	v_pk_fma_f32 v[54:55], v[24:25], s[6:7], v[52:53] op_sel:[0,0,1] op_sel_hi:[1,0,0]
	v_pk_fma_f32 v[52:53], v[24:25], s[6:7], v[52:53] op_sel:[0,0,1] op_sel_hi:[1,0,0] neg_lo:[0,0,1] neg_hi:[0,0,1]
	v_mov_b32_e32 v58, v54
	v_mov_b32_e32 v59, v53
	v_pk_add_f32 v[46:47], v[58:59], v[46:47]
	v_pk_mul_f32 v[58:59], v[38:39], s[20:21] op_sel_hi:[1,0]
	v_pk_add_f32 v[2:3], v[66:67], v[2:3]
	v_pk_fma_f32 v[60:61], v[36:37], s[16:17], v[58:59] op_sel:[0,0,1] op_sel_hi:[1,0,0]
	v_pk_fma_f32 v[58:59], v[36:37], s[16:17], v[58:59] op_sel:[0,0,1] op_sel_hi:[1,0,0] neg_lo:[0,0,1] neg_hi:[0,0,1]
	v_mov_b32_e32 v62, v60
	v_mov_b32_e32 v63, v59
	v_pk_add_f32 v[46:47], v[62:63], v[46:47]
	v_pk_mul_f32 v[62:63], v[42:43], s[18:19] op_sel_hi:[1,0]
	v_pk_add_f32 v[2:3], v[72:73], v[2:3]
	v_pk_fma_f32 v[64:65], v[40:41], s[10:11], v[62:63] op_sel:[0,0,1] op_sel_hi:[1,0,0]
	v_pk_fma_f32 v[62:63], v[40:41], s[10:11], v[62:63] op_sel:[0,0,1] op_sel_hi:[1,0,0] neg_lo:[0,0,1] neg_hi:[0,0,1]
	v_mov_b32_e32 v66, v64
	v_mov_b32_e32 v67, v63
	v_pk_add_f32 v[46:47], v[66:67], v[46:47]
	ds_write2_b64 v4, v[2:3], v[46:47] offset0:2 offset1:3
	v_pk_mul_f32 v[2:3], v[34:35], s[18:19] op_sel_hi:[1,0]
	s_mov_b32 s26, s13
	v_pk_fma_f32 v[46:47], v[32:33], s[10:11], v[2:3] op_sel:[0,0,1] op_sel_hi:[1,0,0]
	v_pk_fma_f32 v[2:3], v[32:33], s[10:11], v[2:3] op_sel:[0,0,1] op_sel_hi:[1,0,0] neg_lo:[0,0,1] neg_hi:[0,0,1]
	v_pk_mul_f32 v[68:69], v[30:31], s[26:27] op_sel_hi:[1,0]
	v_mov_b32_e32 v66, v46
	v_mov_b32_e32 v67, v3
	v_pk_fma_f32 v[70:71], v[28:29], s[12:13], v[68:69] op_sel:[0,0,1] op_sel_hi:[1,0,0]
	v_pk_fma_f32 v[68:69], v[28:29], s[12:13], v[68:69] op_sel:[0,0,1] op_sel_hi:[1,0,0] neg_lo:[0,0,1] neg_hi:[0,0,1]
	v_pk_add_f32 v[66:67], v[0:1], v[66:67]
	v_mov_b32_e32 v72, v70
	v_mov_b32_e32 v73, v69
	v_pk_add_f32 v[66:67], v[72:73], v[66:67]
	v_pk_mul_f32 v[72:73], v[26:27], s[20:21] op_sel_hi:[1,0]
	v_pk_mul_f32 v[34:35], v[34:35], s[22:23] op_sel_hi:[1,0]
	v_pk_fma_f32 v[74:75], v[24:25], s[16:17], v[72:73] op_sel:[0,0,1] op_sel_hi:[1,0,0]
	v_pk_fma_f32 v[72:73], v[24:25], s[16:17], v[72:73] op_sel:[0,0,1] op_sel_hi:[1,0,0] neg_lo:[0,0,1] neg_hi:[0,0,1]
	v_mov_b32_e32 v84, v74
	v_mov_b32_e32 v85, v73
	v_pk_add_f32 v[66:67], v[84:85], v[66:67]
	v_pk_mul_f32 v[84:85], v[38:39], s[22:23] op_sel_hi:[1,0]
	v_pk_mul_f32 v[26:27], v[26:27], s[18:19] op_sel_hi:[1,0]
	v_pk_fma_f32 v[86:87], v[36:37], s[14:15], v[84:85] op_sel:[0,0,1] op_sel_hi:[1,0,0]
	v_pk_fma_f32 v[84:85], v[36:37], s[14:15], v[84:85] op_sel:[0,0,1] op_sel_hi:[1,0,0] neg_lo:[0,0,1] neg_hi:[0,0,1]
	v_mov_b32_e32 v88, v86
	v_mov_b32_e32 v89, v85
	v_pk_add_f32 v[66:67], v[88:89], v[66:67]
	v_pk_mul_f32 v[88:89], v[42:43], s[24:25] op_sel_hi:[1,0]
	v_mov_b32_e32 v3, v47
	v_pk_fma_f32 v[90:91], v[40:41], s[6:7], v[88:89] op_sel:[0,0,1] op_sel_hi:[1,0,0]
	v_pk_fma_f32 v[88:89], v[40:41], s[6:7], v[88:89] op_sel:[0,0,1] op_sel_hi:[1,0,0] neg_lo:[0,0,1] neg_hi:[0,0,1]
	v_mov_b32_e32 v92, v90
	v_mov_b32_e32 v93, v89
	v_pk_add_f32 v[66:67], v[92:93], v[66:67]
	v_pk_fma_f32 v[92:93], v[32:33], s[14:15], v[34:35] op_sel:[0,0,1] op_sel_hi:[1,0,0]
	v_pk_fma_f32 v[32:33], v[32:33], s[14:15], v[34:35] op_sel:[0,0,1] op_sel_hi:[1,0,0] neg_lo:[0,0,1] neg_hi:[0,0,1]
	s_mov_b32 s14, s17
	v_pk_mul_f32 v[30:31], v[30:31], s[14:15] op_sel_hi:[1,0]
	v_pk_add_f32 v[2:3], v[0:1], v[2:3]
	v_pk_fma_f32 v[34:35], v[28:29], s[16:17], v[30:31] op_sel:[0,0,1] op_sel_hi:[1,0,0]
	v_pk_fma_f32 v[28:29], v[28:29], s[16:17], v[30:31] op_sel:[0,0,1] op_sel_hi:[1,0,0] neg_lo:[0,0,1] neg_hi:[0,0,1]
	v_mov_b32_e32 v30, v92
	v_mov_b32_e32 v31, v33
	v_pk_add_f32 v[30:31], v[0:1], v[30:31]
	v_mov_b32_e32 v94, v34
	v_mov_b32_e32 v95, v29
	v_pk_add_f32 v[30:31], v[94:95], v[30:31]
	v_pk_fma_f32 v[94:95], v[24:25], s[10:11], v[26:27] op_sel:[0,0,1] op_sel_hi:[1,0,0]
	v_pk_fma_f32 v[24:25], v[24:25], s[10:11], v[26:27] op_sel:[0,0,1] op_sel_hi:[1,0,0] neg_lo:[0,0,1] neg_hi:[0,0,1]
	v_mov_b32_e32 v26, v94
	v_mov_b32_e32 v27, v25
	v_pk_add_f32 v[26:27], v[26:27], v[30:31]
	v_pk_mul_f32 v[30:31], v[38:39], s[24:25] op_sel_hi:[1,0]
	v_mov_b32_e32 v33, v93
	v_pk_fma_f32 v[38:39], v[36:37], s[6:7], v[30:31] op_sel:[0,0,1] op_sel_hi:[1,0,0]
	v_pk_fma_f32 v[30:31], v[36:37], s[6:7], v[30:31] op_sel:[0,0,1] op_sel_hi:[1,0,0] neg_lo:[0,0,1] neg_hi:[0,0,1]
	v_mov_b32_e32 v36, v38
	v_mov_b32_e32 v37, v31
	v_pk_add_f32 v[26:27], v[36:37], v[26:27]
	v_pk_mul_f32 v[36:37], v[42:43], s[0:1] op_sel_hi:[1,0]
	v_mov_b32_e32 v29, v35
	v_pk_fma_f32 v[42:43], v[40:41], s[12:13], v[36:37] op_sel:[0,0,1] op_sel_hi:[1,0,0]
	v_pk_fma_f32 v[36:37], v[40:41], s[12:13], v[36:37] op_sel:[0,0,1] op_sel_hi:[1,0,0] neg_lo:[0,0,1] neg_hi:[0,0,1]
	v_mov_b32_e32 v40, v42
	v_mov_b32_e32 v41, v37
	v_pk_add_f32 v[26:27], v[40:41], v[26:27]
	ds_write2_b64 v4, v[66:67], v[26:27] offset0:4 offset1:5
	v_pk_add_f32 v[26:27], v[0:1], v[32:33]
	v_mov_b32_e32 v69, v71
	v_pk_add_f32 v[26:27], v[28:29], v[26:27]
	v_mov_b32_e32 v25, v95
	;; [unrolled: 2-line block ×7, first 2 shown]
	v_pk_add_f32 v[24:25], v[36:37], v[24:25]
	v_pk_add_f32 v[2:3], v[88:89], v[2:3]
	v_mov_b32_e32 v9, v45
	v_mov_b32_e32 v7, v5
	ds_write2_b64 v4, v[24:25], v[2:3] offset0:6 offset1:7
	v_pk_add_f32 v[2:3], v[0:1], v[8:9]
	v_mov_b32_e32 v49, v51
	v_pk_add_f32 v[0:1], v[0:1], v[6:7]
	v_mov_b32_e32 v13, v11
	;; [unrolled: 2-line block ×8, first 2 shown]
	v_pk_add_f32 v[2:3], v[62:63], v[2:3]
	v_pk_add_f32 v[0:1], v[80:81], v[0:1]
	ds_write2_b64 v4, v[2:3], v[22:23] offset0:8 offset1:9
	ds_write_b64 v4, v[0:1] offset:80
.LBB0_13:
	s_or_b64 exec, exec, s[2:3]
	s_movk_i32 s0, 0x75
	v_mul_lo_u16_sdwa v0, v77, s0 dst_sel:DWORD dst_unused:UNUSED_PAD src0_sel:BYTE_0 src1_sel:DWORD
	v_sub_u16_sdwa v1, v77, v0 dst_sel:DWORD dst_unused:UNUSED_PAD src0_sel:DWORD src1_sel:BYTE_1
	v_lshrrev_b16_e32 v1, 1, v1
	v_and_b32_e32 v1, 0x7f, v1
	v_add_u16_sdwa v0, v1, v0 dst_sel:DWORD dst_unused:UNUSED_PAD src0_sel:DWORD src1_sel:BYTE_1
	v_lshrrev_b16_e32 v27, 3, v0
	v_mul_lo_u16_e32 v0, 11, v27
	v_sub_u16_e32 v40, v77, v0
	v_mov_b32_e32 v0, 6
	v_lshlrev_b32_sdwa v16, v0, v40 dst_sel:DWORD dst_unused:UNUSED_PAD src0_sel:DWORD src1_sel:BYTE_0
	s_waitcnt lgkmcnt(0)
	; wave barrier
	s_waitcnt lgkmcnt(0)
	global_load_dwordx4 v[0:3], v16, s[4:5]
	global_load_dwordx4 v[4:7], v16, s[4:5] offset:16
	global_load_dwordx4 v[8:11], v16, s[4:5] offset:32
	;; [unrolled: 1-line block ×3, first 2 shown]
	ds_read2_b64 v[28:31], v76 offset1:55
	ds_read2_b64 v[16:19], v76 offset0:110 offset1:165
	ds_read2_b64 v[32:35], v79 offset0:74 offset1:129
	ds_read_b64 v[24:25], v76 offset:3520
	v_add_u32_e32 v26, 0x400, v76
	v_mov_b32_e32 v41, 3
	ds_read2_b64 v[36:39], v26 offset0:92 offset1:147
	v_mul_u32_u24_e32 v27, 0x318, v27
	v_lshlrev_b32_sdwa v40, v41, v40 dst_sel:DWORD dst_unused:UNUSED_PAD src0_sel:DWORD src1_sel:BYTE_0
	v_add3_u32 v49, 0, v27, v40
	s_mov_b32 s10, 0x3f441b7d
	s_mov_b32 s14, 0x3f7c1c5c
	;; [unrolled: 1-line block ×8, first 2 shown]
	s_waitcnt lgkmcnt(0)
	; wave barrier
	s_waitcnt vmcnt(3) lgkmcnt(0)
	v_mul_f32_e32 v40, v1, v31
	v_mul_f32_e32 v1, v1, v30
	s_waitcnt vmcnt(2)
	v_mul_f32_e32 v42, v5, v19
	v_mul_f32_e32 v5, v5, v18
	s_waitcnt vmcnt(1)
	v_mov_b32_e32 v44, v11
	v_pk_mul_f32 v[46:47], v[32:33], v[10:11] op_sel:[1,0] op_sel_hi:[0,1]
	s_waitcnt vmcnt(0)
	v_mov_b32_e32 v48, v13
	v_pk_mul_f32 v[50:51], v[34:35], v[12:13] op_sel:[1,0] op_sel_hi:[0,1]
	v_mov_b32_e32 v52, v15
	v_pk_mul_f32 v[54:55], v[24:25], v[14:15] op_sel:[1,0] op_sel_hi:[0,1]
	v_pk_mul_f32 v[56:57], v[2:3], v[16:17] op_sel:[0,1]
	v_fmac_f32_e32 v40, v0, v30
	v_fma_f32 v41, v0, v31, -v1
	v_fmac_f32_e32 v42, v4, v18
	v_fma_f32 v43, v4, v19, -v5
	v_pk_mul_f32 v[0:1], v[32:33], v[44:45] op_sel:[1,0] op_sel_hi:[0,1]
	v_mov_b32_e32 v5, v46
	v_pk_mul_f32 v[18:19], v[34:35], v[48:49] op_sel:[1,0] op_sel_hi:[0,1]
	v_mov_b32_e32 v27, v50
	;; [unrolled: 2-line block ×3, first 2 shown]
	v_pk_fma_f32 v[46:47], v[2:3], v[16:17], v[56:57] op_sel:[0,0,1] op_sel_hi:[1,1,0]
	v_pk_fma_f32 v[2:3], v[2:3], v[16:17], v[56:57] op_sel:[0,0,1] op_sel_hi:[1,0,0] neg_lo:[1,0,0] neg_hi:[1,0,0]
	v_pk_fma_f32 v[0:1], v[32:33], v[10:11], v[0:1]
	v_pk_fma_f32 v[4:5], v[32:33], v[10:11], v[4:5] op_sel:[1,0,0] op_sel_hi:[0,1,1] neg_lo:[1,0,0] neg_hi:[1,0,0]
	v_pk_fma_f32 v[10:11], v[34:35], v[12:13], v[18:19]
	;; [unrolled: 2-line block ×3, first 2 shown]
	v_pk_fma_f32 v[14:15], v[24:25], v[14:15], v[44:45] op_sel:[1,0,0] op_sel_hi:[0,1,1] neg_lo:[1,0,0] neg_hi:[1,0,0]
	v_mov_b32_e32 v47, v3
	v_mov_b32_e32 v19, v15
	v_mov_b32_e32 v11, v13
	v_pk_mul_f32 v[58:59], v[6:7], v[36:37] op_sel:[0,1]
	v_pk_mul_f32 v[60:61], v[8:9], v[38:39] op_sel:[0,1]
	v_mov_b32_e32 v1, v5
	v_pk_add_f32 v[4:5], v[40:41], v[18:19]
	v_pk_add_f32 v[14:15], v[40:41], v[18:19] neg_lo:[0,1] neg_hi:[0,1]
	v_pk_add_f32 v[18:19], v[46:47], v[10:11]
	v_pk_fma_f32 v[16:17], v[6:7], v[36:37], v[58:59] op_sel:[0,0,1] op_sel_hi:[1,1,0]
	v_pk_fma_f32 v[6:7], v[6:7], v[36:37], v[58:59] op_sel:[0,0,1] op_sel_hi:[1,0,0] neg_lo:[1,0,0] neg_hi:[1,0,0]
	v_pk_fma_f32 v[36:37], v[8:9], v[38:39], v[60:61] op_sel:[0,0,1] op_sel_hi:[1,1,0]
	v_pk_fma_f32 v[8:9], v[8:9], v[38:39], v[60:61] op_sel:[0,0,1] op_sel_hi:[1,0,0] neg_lo:[1,0,0] neg_hi:[1,0,0]
	v_pk_add_f32 v[12:13], v[42:43], v[0:1]
	v_pk_add_f32 v[10:11], v[46:47], v[10:11] neg_lo:[0,1] neg_hi:[0,1]
	v_pk_add_f32 v[30:31], v[18:19], v[4:5]
	v_mov_b32_e32 v17, v7
	v_mov_b32_e32 v37, v9
	v_pk_add_f32 v[0:1], v[42:43], v[0:1] neg_lo:[0,1] neg_hi:[0,1]
	v_pk_fma_f32 v[32:33], v[4:5], s[10:11], v[28:29] op_sel_hi:[1,0,1]
	v_pk_mul_f32 v[34:35], v[10:11], s[14:15] op_sel_hi:[1,0]
	v_pk_add_f32 v[38:39], v[12:13], v[30:31]
	v_pk_add_f32 v[2:3], v[16:17], v[36:37] neg_lo:[0,1] neg_hi:[0,1]
	v_pk_add_f32 v[8:9], v[16:17], v[36:37]
	v_pk_mul_f32 v[24:25], v[0:1], s[0:1] op_sel_hi:[1,0]
	v_pk_fma_f32 v[34:35], v[14:15], s[12:13], v[34:35] op_sel:[1,0,1] op_sel_hi:[0,0,0]
	v_pk_fma_f32 v[32:33], v[18:19], s[16:17], v[32:33] op_sel_hi:[1,0,1]
	v_pk_add_f32 v[16:17], v[16:17], v[38:39]
	v_pk_mul_f32 v[6:7], v[2:3], s[6:7] op_sel_hi:[1,0]
	v_pk_add_f32 v[34:35], v[24:25], v[34:35] op_sel:[1,0] op_sel_hi:[0,1]
	v_pk_fma_f32 v[32:33], v[12:13], 0.5, v[32:33] op_sel_hi:[1,0,1] neg_lo:[1,0,0] neg_hi:[1,0,0]
	v_pk_add_f32 v[16:17], v[36:37], v[16:17]
	v_pk_add_f32 v[6:7], v[6:7], v[34:35] op_sel:[1,0] op_sel_hi:[0,1]
	v_pk_add_f32 v[34:35], v[28:29], v[16:17]
	v_pk_fma_f32 v[16:17], v[8:9], s[2:3], v[32:33] op_sel_hi:[1,0,1] neg_lo:[1,0,0] neg_hi:[1,0,0]
	v_pk_fma_f32 v[0:1], v[18:19], s[10:11], v[28:29] op_sel_hi:[1,0,1]
	v_pk_add_f32 v[32:33], v[16:17], v[6:7] neg_lo:[0,1] neg_hi:[0,1]
	v_pk_add_f32 v[36:37], v[16:17], v[6:7]
	v_pk_mul_f32 v[16:17], v[2:3], s[14:15] op_sel:[1,0] op_sel_hi:[0,0]
	v_pk_fma_f32 v[16:17], v[10:11], s[18:19], v[16:17] op_sel:[1,0,0] op_sel_hi:[0,0,1] neg_lo:[0,0,1] neg_hi:[0,0,1]
	v_pk_fma_f32 v[0:1], v[8:9], s[16:17], v[0:1] op_sel_hi:[1,0,1]
	v_mov_b32_e32 v33, v37
	v_fma_f32 v6, 2.0, v6, v32
	v_fma_f32 v7, -2.0, v7, v37
	v_pk_add_f32 v[16:17], v[24:25], v[16:17] op_sel:[1,0] op_sel_hi:[0,1]
	v_pk_fma_f32 v[0:1], v[12:13], 0.5, v[0:1] op_sel_hi:[1,0,1] neg_lo:[1,0,0] neg_hi:[1,0,0]
	ds_write2_b64 v49, v[34:35], v[32:33] offset1:11
	v_pk_mul_f32 v[32:33], v[2:3], s[12:13] op_sel_hi:[1,0]
	v_pk_fma_f32 v[36:37], v[8:9], s[10:11], v[28:29] op_sel_hi:[1,0,1]
	v_pk_fma_f32 v[16:17], v[14:15], s[6:7], v[16:17] op_sel:[1,0,0] op_sel_hi:[0,0,1]
	v_pk_fma_f32 v[0:1], v[4:5], s[2:3], v[0:1] op_sel_hi:[1,0,1] neg_lo:[1,0,0] neg_hi:[1,0,0]
	v_pk_fma_f32 v[32:33], v[14:15], s[14:15], v[32:33] op_sel:[1,0,1] op_sel_hi:[0,0,0] neg_lo:[0,0,1] neg_hi:[0,0,1]
	v_pk_fma_f32 v[4:5], v[4:5], s[16:17], v[36:37] op_sel_hi:[1,0,1]
	v_pk_add_f32 v[38:39], v[0:1], v[16:17] neg_lo:[0,1] neg_hi:[0,1]
	v_pk_add_f32 v[0:1], v[0:1], v[16:17]
	v_pk_mul_f32 v[34:35], v[10:11], s[6:7] op_sel_hi:[1,0]
	v_pk_add_f32 v[24:25], v[32:33], v[24:25] op_sel:[0,1] op_sel_hi:[1,0] neg_lo:[0,1] neg_hi:[0,1]
	v_pk_fma_f32 v[4:5], v[12:13], 0.5, v[4:5] op_sel_hi:[1,0,1] neg_lo:[1,0,0] neg_hi:[1,0,0]
	v_pk_add_f32 v[12:13], v[12:13], v[28:29]
	v_pk_add_f32 v[2:3], v[2:3], v[14:15] op_sel:[1,1] op_sel_hi:[0,0]
	v_pk_add_f32 v[8:9], v[8:9], v[30:31]
	v_mov_b32_e32 v39, v1
	v_pk_add_f32 v[24:25], v[34:35], v[24:25] op_sel:[1,0] op_sel_hi:[0,1]
	v_pk_fma_f32 v[4:5], v[18:19], s[2:3], v[4:5] op_sel_hi:[1,0,1] neg_lo:[1,0,0] neg_hi:[1,0,0]
	v_pk_add_f32 v[2:3], v[2:3], v[10:11] op_sel:[0,1] op_sel_hi:[1,0] neg_lo:[0,1] neg_hi:[0,1]
	v_pk_fma_f32 v[8:9], v[8:9], 0.5, v[12:13] op_sel_hi:[1,0,1] neg_lo:[1,0,0] neg_hi:[1,0,0]
	v_pk_fma_f32 v[0:1], v[16:17], 2.0, v[38:39] op_sel_hi:[1,0,1]
	v_pk_fma_f32 v[16:17], v[16:17], 2.0, v[38:39] op_sel_hi:[1,0,1] neg_lo:[1,0,0] neg_hi:[1,0,0]
	v_pk_add_f32 v[18:19], v[4:5], v[24:25] neg_lo:[0,1] neg_hi:[0,1]
	v_pk_add_f32 v[4:5], v[4:5], v[24:25]
	v_pk_mul_f32 v[10:11], v[2:3], s[0:1] op_sel_hi:[1,0]
	v_pk_fma_f32 v[12:13], v[2:3], s[0:1], v[8:9] op_sel_hi:[1,0,1] neg_lo:[1,0,0] neg_hi:[1,0,0]
	v_pk_fma_f32 v[2:3], v[2:3], s[0:1], v[8:9] op_sel_hi:[1,0,1]
	v_mov_b32_e32 v19, v5
	v_mov_b32_e32 v13, v3
	;; [unrolled: 1-line block ×3, first 2 shown]
	v_fma_f32 v4, 2.0, v24, v18
	v_fmac_f32_e32 v5, -2.0, v25
	v_fma_f32 v2, 2.0, v10, v12
	v_fmac_f32_e32 v3, -2.0, v11
	ds_write2_b64 v49, v[18:19], v[12:13] offset0:22 offset1:33
	ds_write2_b64 v49, v[38:39], v[0:1] offset0:44 offset1:55
	;; [unrolled: 1-line block ×3, first 2 shown]
	ds_write_b64 v49, v[6:7] offset:704
	s_waitcnt lgkmcnt(0)
	; wave barrier
	s_waitcnt lgkmcnt(0)
	ds_read2_b64 v[8:11], v76 offset1:99
	ds_read2_b64 v[12:15], v26 offset0:70 offset1:169
	ds_read_b64 v[24:25], v76 offset:3168
	v_cmp_gt_u32_e64 s[0:1], 44, v77
	s_and_saveexec_b64 s[2:3], s[0:1]
	s_cbranch_execz .LBB0_15
; %bb.14:
	ds_read2_b64 v[0:3], v76 offset0:55 offset1:154
	ds_read2_b64 v[4:7], v26 offset0:125 offset1:224
	ds_read_b64 v[22:23], v76 offset:3608
	s_waitcnt lgkmcnt(2)
	v_mov_b32_e32 v17, v1
.LBB0_15:
	s_or_b64 exec, exec, s[2:3]
	v_lshlrev_b32_e32 v18, 2, v77
	v_mov_b32_e32 v19, 0
	v_lshl_add_u64 v[36:37], v[18:19], 3, s[4:5]
	global_load_dwordx4 v[28:31], v[36:37], off offset:704
	global_load_dwordx4 v[32:35], v[36:37], off offset:720
	s_mov_b32 s6, 0x3f737871
	s_mov_b32 s10, 0x3f167918
	;; [unrolled: 1-line block ×3, first 2 shown]
	s_waitcnt lgkmcnt(0)
	; wave barrier
	s_waitcnt vmcnt(1) lgkmcnt(0)
	v_pk_mul_f32 v[36:37], v[28:29], v[10:11] op_sel:[0,1]
	v_pk_mul_f32 v[38:39], v[30:31], v[12:13] op_sel:[0,1]
	s_waitcnt vmcnt(0)
	v_pk_mul_f32 v[40:41], v[32:33], v[14:15] op_sel:[0,1]
	v_pk_mul_f32 v[42:43], v[34:35], v[24:25] op_sel:[0,1]
	v_pk_fma_f32 v[44:45], v[28:29], v[10:11], v[36:37] op_sel:[0,0,1] op_sel_hi:[1,1,0]
	v_pk_fma_f32 v[10:11], v[28:29], v[10:11], v[36:37] op_sel:[0,0,1] op_sel_hi:[1,0,0] neg_lo:[1,0,0] neg_hi:[1,0,0]
	v_pk_fma_f32 v[28:29], v[30:31], v[12:13], v[38:39] op_sel:[0,0,1] op_sel_hi:[1,1,0]
	v_pk_fma_f32 v[12:13], v[30:31], v[12:13], v[38:39] op_sel:[0,0,1] op_sel_hi:[1,0,0] neg_lo:[1,0,0] neg_hi:[1,0,0]
	;; [unrolled: 2-line block ×4, first 2 shown]
	v_mov_b32_e32 v45, v11
	v_mov_b32_e32 v29, v13
	;; [unrolled: 1-line block ×4, first 2 shown]
	v_pk_add_f32 v[10:11], v[8:9], v[44:45]
	v_pk_add_f32 v[12:13], v[28:29], v[30:31]
	v_pk_add_f32 v[14:15], v[44:45], v[32:33] neg_lo:[0,1] neg_hi:[0,1]
	v_pk_add_f32 v[24:25], v[28:29], v[30:31] neg_lo:[0,1] neg_hi:[0,1]
	;; [unrolled: 1-line block ×3, first 2 shown]
	v_pk_add_f32 v[38:39], v[44:45], v[32:33]
	v_pk_add_f32 v[40:41], v[28:29], v[44:45] neg_lo:[0,1] neg_hi:[0,1]
	v_pk_add_f32 v[10:11], v[10:11], v[28:29]
	v_pk_fma_f32 v[12:13], v[12:13], 0.5, v[8:9] op_sel_hi:[1,0,1] neg_lo:[1,0,0] neg_hi:[1,0,0]
	v_pk_mul_f32 v[28:29], v[14:15], s[6:7] op_sel_hi:[1,0]
	v_pk_add_f32 v[36:37], v[32:33], v[30:31] neg_lo:[0,1] neg_hi:[0,1]
	v_pk_add_f32 v[42:43], v[30:31], v[32:33] neg_lo:[0,1] neg_hi:[0,1]
	v_pk_mul_f32 v[44:45], v[24:25], s[10:11] op_sel_hi:[1,0]
	v_pk_fma_f32 v[8:9], v[38:39], 0.5, v[8:9] op_sel_hi:[1,0,1] neg_lo:[1,0,0] neg_hi:[1,0,0]
	v_pk_mul_f32 v[24:25], v[24:25], s[6:7] op_sel_hi:[1,0]
	v_pk_add_f32 v[10:11], v[10:11], v[30:31]
	v_pk_add_f32 v[30:31], v[12:13], v[28:29] op_sel:[0,1] op_sel_hi:[1,0] neg_lo:[0,1] neg_hi:[0,1]
	v_pk_add_f32 v[12:13], v[12:13], v[28:29] op_sel:[0,1] op_sel_hi:[1,0]
	v_pk_mul_f32 v[14:15], v[14:15], s[10:11] op_sel_hi:[1,0]
	v_pk_add_f32 v[28:29], v[8:9], v[24:25] op_sel:[0,1] op_sel_hi:[1,0]
	v_pk_add_f32 v[8:9], v[8:9], v[24:25] op_sel:[0,1] op_sel_hi:[1,0] neg_lo:[0,1] neg_hi:[0,1]
	v_pk_add_f32 v[12:13], v[12:13], v[44:45] op_sel:[0,1] op_sel_hi:[1,0]
	v_pk_add_f32 v[24:25], v[30:31], v[44:45] op_sel:[0,1] op_sel_hi:[1,0] neg_lo:[0,1] neg_hi:[0,1]
	v_pk_add_f32 v[34:35], v[34:35], v[36:37]
	v_pk_add_f32 v[8:9], v[8:9], v[14:15] op_sel:[0,1] op_sel_hi:[1,0]
	v_pk_add_f32 v[14:15], v[28:29], v[14:15] op_sel:[0,1] op_sel_hi:[1,0] neg_lo:[0,1] neg_hi:[0,1]
	v_mov_b32_e32 v28, v24
	v_mov_b32_e32 v29, v13
	v_pk_add_f32 v[36:37], v[40:41], v[42:43]
	v_pk_add_f32 v[10:11], v[10:11], v[32:33]
	v_mov_b32_e32 v30, v14
	v_mov_b32_e32 v31, v9
	;; [unrolled: 1-line block ×4, first 2 shown]
	v_pk_fma_f32 v[14:15], v[34:35], s[2:3], v[28:29] op_sel_hi:[1,0,1]
	v_pk_fma_f32 v[24:25], v[36:37], s[2:3], v[30:31] op_sel_hi:[1,0,1]
	;; [unrolled: 1-line block ×4, first 2 shown]
	ds_write2_b64 v76, v[10:11], v[14:15] offset1:99
	ds_write2_b64 v26, v[24:25], v[8:9] offset0:70 offset1:169
	ds_write_b64 v76, v[12:13] offset:3168
	s_and_saveexec_b64 s[12:13], s[0:1]
	s_cbranch_execz .LBB0_17
; %bb.16:
	v_subrev_u32_e32 v1, 44, v77
	v_cndmask_b32_e64 v1, v1, v78, s[0:1]
	v_lshlrev_b32_e32 v18, 2, v1
	v_lshl_add_u64 v[18:19], v[18:19], 3, s[4:5]
	global_load_dwordx4 v[8:11], v[18:19], off offset:720
	global_load_dwordx4 v[12:15], v[18:19], off offset:704
	v_mov_b32_e32 v16, v7
	v_mov_b32_e32 v18, v5
	;; [unrolled: 1-line block ×4, first 2 shown]
	v_add_u32_e32 v30, 0x400, v76
	s_waitcnt vmcnt(1)
	v_pk_mul_f32 v[26:27], v[22:23], v[10:11] op_sel:[1,0]
	v_pk_mul_f32 v[16:17], v[16:17], v[8:9] op_sel_hi:[0,1]
	s_waitcnt vmcnt(0)
	v_pk_mul_f32 v[18:19], v[18:19], v[14:15] op_sel_hi:[0,1]
	v_pk_mul_f32 v[24:25], v[24:25], v[12:13] op_sel_hi:[0,1]
	v_pk_fma_f32 v[28:29], v[2:3], v[12:13], v[24:25] op_sel:[0,0,1] op_sel_hi:[1,1,0]
	v_pk_fma_f32 v[2:3], v[2:3], v[12:13], v[24:25] op_sel:[0,0,1] op_sel_hi:[0,1,0] neg_lo:[1,0,0] neg_hi:[1,0,0]
	v_pk_fma_f32 v[12:13], v[4:5], v[14:15], v[18:19] op_sel:[0,0,1] op_sel_hi:[1,1,0]
	v_pk_fma_f32 v[4:5], v[4:5], v[14:15], v[18:19] op_sel:[0,0,1] op_sel_hi:[0,1,0] neg_lo:[1,0,0] neg_hi:[1,0,0]
	v_pk_fma_f32 v[14:15], v[6:7], v[8:9], v[16:17] op_sel:[0,0,1] op_sel_hi:[1,1,0]
	v_pk_fma_f32 v[6:7], v[6:7], v[8:9], v[16:17] op_sel:[0,0,1] op_sel_hi:[0,1,0] neg_lo:[1,0,0] neg_hi:[1,0,0]
	v_pk_fma_f32 v[8:9], v[22:23], v[10:11], v[26:27] op_sel:[0,0,1] op_sel_hi:[1,1,0]
	v_pk_fma_f32 v[10:11], v[22:23], v[10:11], v[26:27] op_sel:[0,0,1] op_sel_hi:[0,1,0] neg_lo:[1,0,0] neg_hi:[1,0,0]
	v_mov_b32_e32 v29, v3
	v_mov_b32_e32 v13, v5
	;; [unrolled: 1-line block ×4, first 2 shown]
	v_pk_add_f32 v[2:3], v[0:1], v[28:29]
	v_pk_add_f32 v[6:7], v[28:29], v[8:9] neg_lo:[0,1] neg_hi:[0,1]
	v_pk_add_f32 v[10:11], v[12:13], v[14:15]
	v_pk_add_f32 v[4:5], v[12:13], v[14:15] neg_lo:[0,1] neg_hi:[0,1]
	v_pk_add_f32 v[16:17], v[28:29], v[12:13] neg_lo:[0,1] neg_hi:[0,1]
	;; [unrolled: 1-line block ×3, first 2 shown]
	v_pk_add_f32 v[26:27], v[28:29], v[8:9]
	v_pk_add_f32 v[2:3], v[2:3], v[12:13]
	v_pk_fma_f32 v[10:11], v[10:11], 0.5, v[0:1] op_sel_hi:[1,0,1] neg_lo:[1,0,0] neg_hi:[1,0,0]
	v_pk_mul_f32 v[12:13], v[6:7], s[6:7] op_sel_hi:[1,0]
	v_pk_add_f32 v[18:19], v[8:9], v[14:15] neg_lo:[0,1] neg_hi:[0,1]
	v_pk_add_f32 v[24:25], v[14:15], v[8:9] neg_lo:[0,1] neg_hi:[0,1]
	v_pk_mul_f32 v[28:29], v[4:5], s[10:11] op_sel_hi:[1,0]
	v_pk_fma_f32 v[0:1], v[26:27], 0.5, v[0:1] op_sel_hi:[1,0,1] neg_lo:[1,0,0] neg_hi:[1,0,0]
	v_pk_mul_f32 v[4:5], v[4:5], s[6:7] op_sel_hi:[1,0]
	v_pk_add_f32 v[2:3], v[2:3], v[14:15]
	v_pk_add_f32 v[14:15], v[10:11], v[12:13] op_sel:[0,1] op_sel_hi:[1,0] neg_lo:[0,1] neg_hi:[0,1]
	v_pk_add_f32 v[10:11], v[10:11], v[12:13] op_sel:[0,1] op_sel_hi:[1,0]
	v_pk_mul_f32 v[6:7], v[6:7], s[10:11] op_sel_hi:[1,0]
	v_pk_add_f32 v[12:13], v[0:1], v[4:5] op_sel:[0,1] op_sel_hi:[1,0]
	v_pk_add_f32 v[0:1], v[0:1], v[4:5] op_sel:[0,1] op_sel_hi:[1,0] neg_lo:[0,1] neg_hi:[0,1]
	v_pk_add_f32 v[2:3], v[2:3], v[8:9]
	v_pk_add_f32 v[4:5], v[10:11], v[28:29] op_sel:[0,1] op_sel_hi:[1,0]
	v_pk_add_f32 v[8:9], v[14:15], v[28:29] op_sel:[0,1] op_sel_hi:[1,0] neg_lo:[0,1] neg_hi:[0,1]
	v_pk_add_f32 v[16:17], v[16:17], v[18:19]
	v_pk_add_f32 v[0:1], v[0:1], v[6:7] op_sel:[0,1] op_sel_hi:[1,0]
	v_pk_add_f32 v[6:7], v[12:13], v[6:7] op_sel:[0,1] op_sel_hi:[1,0] neg_lo:[0,1] neg_hi:[0,1]
	v_mov_b32_e32 v10, v8
	v_mov_b32_e32 v11, v5
	v_pk_add_f32 v[18:19], v[22:23], v[24:25]
	v_mov_b32_e32 v12, v6
	v_mov_b32_e32 v13, v1
	;; [unrolled: 1-line block ×4, first 2 shown]
	v_pk_fma_f32 v[6:7], v[16:17], s[2:3], v[10:11] op_sel_hi:[1,0,1]
	v_pk_fma_f32 v[8:9], v[18:19], s[2:3], v[12:13] op_sel_hi:[1,0,1]
	;; [unrolled: 1-line block ×4, first 2 shown]
	ds_write2_b64 v76, v[2:3], v[6:7] offset0:55 offset1:154
	ds_write2_b64 v30, v[8:9], v[0:1] offset0:125 offset1:224
	ds_write_b64 v76, v[4:5] offset:3608
.LBB0_17:
	s_or_b64 exec, exec, s[12:13]
	s_waitcnt lgkmcnt(0)
	; wave barrier
	s_waitcnt lgkmcnt(0)
	s_and_saveexec_b64 s[0:1], vcc
	s_cbranch_execz .LBB0_19
; %bb.18:
	v_mad_u64_u32 v[4:5], s[0:1], s8, v77, 0
	ds_read2_b64 v[0:3], v76 offset1:55
	v_mov_b32_e32 v6, v5
	v_mad_u64_u32 v[6:7], s[0:1], s9, v77, v[6:7]
	v_mov_b32_e32 v5, v6
	v_lshl_add_u64 v[4:5], v[4:5], 3, v[20:21]
	s_waitcnt lgkmcnt(0)
	global_store_dwordx2 v[4:5], v[0:1], off
	v_mad_u64_u32 v[0:1], s[0:1], s8, v78, 0
	v_mov_b32_e32 v4, v1
	v_mad_u64_u32 v[4:5], s[0:1], s9, v78, v[4:5]
	v_mov_b32_e32 v1, v4
	v_lshl_add_u64 v[0:1], v[0:1], 3, v[20:21]
	v_add_u32_e32 v7, 0x6e, v77
	global_store_dwordx2 v[0:1], v[2:3], off
	v_mad_u64_u32 v[4:5], s[0:1], s8, v7, 0
	ds_read2_b64 v[0:3], v76 offset0:110 offset1:165
	v_mov_b32_e32 v6, v5
	v_mad_u64_u32 v[6:7], s[0:1], s9, v7, v[6:7]
	v_mov_b32_e32 v5, v6
	v_lshl_add_u64 v[4:5], v[4:5], 3, v[20:21]
	s_waitcnt lgkmcnt(0)
	global_store_dwordx2 v[4:5], v[0:1], off
	v_add_u32_e32 v5, 0xa5, v77
	v_mad_u64_u32 v[0:1], s[0:1], s8, v5, 0
	v_mov_b32_e32 v4, v1
	v_mad_u64_u32 v[4:5], s[0:1], s9, v5, v[4:5]
	v_mov_b32_e32 v1, v4
	v_lshl_add_u64 v[0:1], v[0:1], 3, v[20:21]
	global_store_dwordx2 v[0:1], v[2:3], off
	v_add_u32_e32 v7, 0xdc, v77
	v_add_u32_e32 v0, 0x400, v76
	v_mad_u64_u32 v[4:5], s[0:1], s8, v7, 0
	ds_read2_b64 v[0:3], v0 offset0:92 offset1:147
	v_mov_b32_e32 v6, v5
	v_mad_u64_u32 v[6:7], s[0:1], s9, v7, v[6:7]
	v_mov_b32_e32 v5, v6
	v_lshl_add_u64 v[4:5], v[4:5], 3, v[20:21]
	s_waitcnt lgkmcnt(0)
	global_store_dwordx2 v[4:5], v[0:1], off
	v_add_u32_e32 v5, 0x113, v77
	v_mad_u64_u32 v[0:1], s[0:1], s8, v5, 0
	v_mov_b32_e32 v4, v1
	v_mad_u64_u32 v[4:5], s[0:1], s9, v5, v[4:5]
	v_mov_b32_e32 v1, v4
	v_lshl_add_u64 v[0:1], v[0:1], 3, v[20:21]
	global_store_dwordx2 v[0:1], v[2:3], off
	v_add_u32_e32 v7, 0x14a, v77
	v_add_u32_e32 v0, 0x800, v76
	v_mad_u64_u32 v[4:5], s[0:1], s8, v7, 0
	ds_read2_b64 v[0:3], v0 offset0:74 offset1:129
	v_mov_b32_e32 v6, v5
	v_mad_u64_u32 v[6:7], s[0:1], s9, v7, v[6:7]
	v_mov_b32_e32 v5, v6
	v_lshl_add_u64 v[4:5], v[4:5], 3, v[20:21]
	s_waitcnt lgkmcnt(0)
	global_store_dwordx2 v[4:5], v[0:1], off
	v_add_u32_e32 v5, 0x181, v77
	v_mad_u64_u32 v[0:1], s[0:1], s8, v5, 0
	v_mov_b32_e32 v4, v1
	v_mad_u64_u32 v[4:5], s[0:1], s9, v5, v[4:5]
	v_mov_b32_e32 v1, v4
	v_lshl_add_u64 v[0:1], v[0:1], 3, v[20:21]
	global_store_dwordx2 v[0:1], v[2:3], off
	v_add_u32_e32 v3, 0x1b8, v77
	v_mad_u64_u32 v[0:1], s[0:1], s8, v3, 0
	ds_read_b64 v[4:5], v76 offset:3520
	v_mov_b32_e32 v2, v1
	v_mad_u64_u32 v[2:3], s[0:1], s9, v3, v[2:3]
	v_mov_b32_e32 v1, v2
	v_lshl_add_u64 v[0:1], v[0:1], 3, v[20:21]
	s_waitcnt lgkmcnt(0)
	global_store_dwordx2 v[0:1], v[4:5], off
.LBB0_19:
	s_endpgm
	.section	.rodata,"a",@progbits
	.p2align	6, 0x0
	.amdhsa_kernel fft_rtc_back_len495_factors_11_9_5_wgs_55_tpt_55_sp_ip_CI_sbrr_dirReg
		.amdhsa_group_segment_fixed_size 0
		.amdhsa_private_segment_fixed_size 0
		.amdhsa_kernarg_size 88
		.amdhsa_user_sgpr_count 2
		.amdhsa_user_sgpr_dispatch_ptr 0
		.amdhsa_user_sgpr_queue_ptr 0
		.amdhsa_user_sgpr_kernarg_segment_ptr 1
		.amdhsa_user_sgpr_dispatch_id 0
		.amdhsa_user_sgpr_kernarg_preload_length 0
		.amdhsa_user_sgpr_kernarg_preload_offset 0
		.amdhsa_user_sgpr_private_segment_size 0
		.amdhsa_uses_dynamic_stack 0
		.amdhsa_enable_private_segment 0
		.amdhsa_system_sgpr_workgroup_id_x 1
		.amdhsa_system_sgpr_workgroup_id_y 0
		.amdhsa_system_sgpr_workgroup_id_z 0
		.amdhsa_system_sgpr_workgroup_info 0
		.amdhsa_system_vgpr_workitem_id 0
		.amdhsa_next_free_vgpr 96
		.amdhsa_next_free_sgpr 28
		.amdhsa_accum_offset 96
		.amdhsa_reserve_vcc 1
		.amdhsa_float_round_mode_32 0
		.amdhsa_float_round_mode_16_64 0
		.amdhsa_float_denorm_mode_32 3
		.amdhsa_float_denorm_mode_16_64 3
		.amdhsa_dx10_clamp 1
		.amdhsa_ieee_mode 1
		.amdhsa_fp16_overflow 0
		.amdhsa_tg_split 0
		.amdhsa_exception_fp_ieee_invalid_op 0
		.amdhsa_exception_fp_denorm_src 0
		.amdhsa_exception_fp_ieee_div_zero 0
		.amdhsa_exception_fp_ieee_overflow 0
		.amdhsa_exception_fp_ieee_underflow 0
		.amdhsa_exception_fp_ieee_inexact 0
		.amdhsa_exception_int_div_zero 0
	.end_amdhsa_kernel
	.text
.Lfunc_end0:
	.size	fft_rtc_back_len495_factors_11_9_5_wgs_55_tpt_55_sp_ip_CI_sbrr_dirReg, .Lfunc_end0-fft_rtc_back_len495_factors_11_9_5_wgs_55_tpt_55_sp_ip_CI_sbrr_dirReg
                                        ; -- End function
	.section	.AMDGPU.csdata,"",@progbits
; Kernel info:
; codeLenInByte = 6292
; NumSgprs: 34
; NumVgprs: 96
; NumAgprs: 0
; TotalNumVgprs: 96
; ScratchSize: 0
; MemoryBound: 0
; FloatMode: 240
; IeeeMode: 1
; LDSByteSize: 0 bytes/workgroup (compile time only)
; SGPRBlocks: 4
; VGPRBlocks: 11
; NumSGPRsForWavesPerEU: 34
; NumVGPRsForWavesPerEU: 96
; AccumOffset: 96
; Occupancy: 5
; WaveLimiterHint : 1
; COMPUTE_PGM_RSRC2:SCRATCH_EN: 0
; COMPUTE_PGM_RSRC2:USER_SGPR: 2
; COMPUTE_PGM_RSRC2:TRAP_HANDLER: 0
; COMPUTE_PGM_RSRC2:TGID_X_EN: 1
; COMPUTE_PGM_RSRC2:TGID_Y_EN: 0
; COMPUTE_PGM_RSRC2:TGID_Z_EN: 0
; COMPUTE_PGM_RSRC2:TIDIG_COMP_CNT: 0
; COMPUTE_PGM_RSRC3_GFX90A:ACCUM_OFFSET: 23
; COMPUTE_PGM_RSRC3_GFX90A:TG_SPLIT: 0
	.text
	.p2alignl 6, 3212836864
	.fill 256, 4, 3212836864
	.type	__hip_cuid_2d7af33319ebed7b,@object ; @__hip_cuid_2d7af33319ebed7b
	.section	.bss,"aw",@nobits
	.globl	__hip_cuid_2d7af33319ebed7b
__hip_cuid_2d7af33319ebed7b:
	.byte	0                               ; 0x0
	.size	__hip_cuid_2d7af33319ebed7b, 1

	.ident	"AMD clang version 19.0.0git (https://github.com/RadeonOpenCompute/llvm-project roc-6.4.0 25133 c7fe45cf4b819c5991fe208aaa96edf142730f1d)"
	.section	".note.GNU-stack","",@progbits
	.addrsig
	.addrsig_sym __hip_cuid_2d7af33319ebed7b
	.amdgpu_metadata
---
amdhsa.kernels:
  - .agpr_count:     0
    .args:
      - .actual_access:  read_only
        .address_space:  global
        .offset:         0
        .size:           8
        .value_kind:     global_buffer
      - .offset:         8
        .size:           8
        .value_kind:     by_value
      - .actual_access:  read_only
        .address_space:  global
        .offset:         16
        .size:           8
        .value_kind:     global_buffer
      - .actual_access:  read_only
        .address_space:  global
        .offset:         24
        .size:           8
        .value_kind:     global_buffer
      - .offset:         32
        .size:           8
        .value_kind:     by_value
      - .actual_access:  read_only
        .address_space:  global
        .offset:         40
        .size:           8
        .value_kind:     global_buffer
      - .actual_access:  read_only
        .address_space:  global
        .offset:         48
        .size:           8
        .value_kind:     global_buffer
      - .offset:         56
        .size:           4
        .value_kind:     by_value
      - .actual_access:  read_only
        .address_space:  global
        .offset:         64
        .size:           8
        .value_kind:     global_buffer
      - .actual_access:  read_only
        .address_space:  global
        .offset:         72
        .size:           8
        .value_kind:     global_buffer
      - .address_space:  global
        .offset:         80
        .size:           8
        .value_kind:     global_buffer
    .group_segment_fixed_size: 0
    .kernarg_segment_align: 8
    .kernarg_segment_size: 88
    .language:       OpenCL C
    .language_version:
      - 2
      - 0
    .max_flat_workgroup_size: 55
    .name:           fft_rtc_back_len495_factors_11_9_5_wgs_55_tpt_55_sp_ip_CI_sbrr_dirReg
    .private_segment_fixed_size: 0
    .sgpr_count:     34
    .sgpr_spill_count: 0
    .symbol:         fft_rtc_back_len495_factors_11_9_5_wgs_55_tpt_55_sp_ip_CI_sbrr_dirReg.kd
    .uniform_work_group_size: 1
    .uses_dynamic_stack: false
    .vgpr_count:     96
    .vgpr_spill_count: 0
    .wavefront_size: 64
amdhsa.target:   amdgcn-amd-amdhsa--gfx950
amdhsa.version:
  - 1
  - 2
...

	.end_amdgpu_metadata
